;; amdgpu-corpus repo=ROCm/rocFFT kind=compiled arch=gfx1100 opt=O3
	.text
	.amdgcn_target "amdgcn-amd-amdhsa--gfx1100"
	.amdhsa_code_object_version 6
	.protected	fft_rtc_fwd_len240_factors_8_5_6_wgs_384_tpt_48_sp_op_CI_CI_sbcc_twdbase8_2step_dirReg_intrinsicRead ; -- Begin function fft_rtc_fwd_len240_factors_8_5_6_wgs_384_tpt_48_sp_op_CI_CI_sbcc_twdbase8_2step_dirReg_intrinsicRead
	.globl	fft_rtc_fwd_len240_factors_8_5_6_wgs_384_tpt_48_sp_op_CI_CI_sbcc_twdbase8_2step_dirReg_intrinsicRead
	.p2align	8
	.type	fft_rtc_fwd_len240_factors_8_5_6_wgs_384_tpt_48_sp_op_CI_CI_sbcc_twdbase8_2step_dirReg_intrinsicRead,@function
fft_rtc_fwd_len240_factors_8_5_6_wgs_384_tpt_48_sp_op_CI_CI_sbcc_twdbase8_2step_dirReg_intrinsicRead: ; @fft_rtc_fwd_len240_factors_8_5_6_wgs_384_tpt_48_sp_op_CI_CI_sbcc_twdbase8_2step_dirReg_intrinsicRead
; %bb.0:
	s_clause 0x1
	s_load_b128 s[20:23], s[0:1], 0x18
	s_load_b64 s[28:29], s[0:1], 0x28
	s_mov_b32 s30, s15
	s_mov_b32 s31, 0
	s_mov_b64 s[24:25], 0
	s_waitcnt lgkmcnt(0)
	s_load_b64 s[26:27], s[20:21], 0x8
	s_waitcnt lgkmcnt(0)
	s_add_u32 s2, s26, -1
	s_addc_u32 s3, s27, -1
	s_delay_alu instid0(SALU_CYCLE_1) | instskip(NEXT) | instid1(SALU_CYCLE_1)
	s_lshr_b64 s[2:3], s[2:3], 3
	s_add_u32 s34, s2, 1
	s_addc_u32 s35, s3, 0
	s_delay_alu instid0(SALU_CYCLE_1) | instskip(NEXT) | instid1(VALU_DEP_1)
	v_cmp_lt_u64_e64 s2, s[30:31], s[34:35]
	s_and_b32 vcc_lo, exec_lo, s2
	s_cbranch_vccnz .LBB0_2
; %bb.1:
	v_cvt_f32_u32_e32 v1, s34
	s_sub_i32 s3, 0, s34
	s_mov_b32 s25, s31
	s_delay_alu instid0(VALU_DEP_1) | instskip(SKIP_2) | instid1(VALU_DEP_1)
	v_rcp_iflag_f32_e32 v1, v1
	s_waitcnt_depctr 0xfff
	v_mul_f32_e32 v1, 0x4f7ffffe, v1
	v_cvt_u32_f32_e32 v1, v1
	s_delay_alu instid0(VALU_DEP_1) | instskip(NEXT) | instid1(VALU_DEP_1)
	v_readfirstlane_b32 s2, v1
	s_mul_i32 s3, s3, s2
	s_delay_alu instid0(SALU_CYCLE_1) | instskip(NEXT) | instid1(SALU_CYCLE_1)
	s_mul_hi_u32 s3, s2, s3
	s_add_i32 s2, s2, s3
	s_delay_alu instid0(SALU_CYCLE_1) | instskip(NEXT) | instid1(SALU_CYCLE_1)
	s_mul_hi_u32 s2, s30, s2
	s_mul_i32 s3, s2, s34
	s_add_i32 s4, s2, 1
	s_sub_i32 s3, s30, s3
	s_delay_alu instid0(SALU_CYCLE_1)
	s_sub_i32 s5, s3, s34
	s_cmp_ge_u32 s3, s34
	s_cselect_b32 s2, s4, s2
	s_cselect_b32 s3, s5, s3
	s_add_i32 s4, s2, 1
	s_cmp_ge_u32 s3, s34
	s_cselect_b32 s24, s4, s2
.LBB0_2:
	s_load_b128 s[16:19], s[22:23], 0x0
	s_load_b128 s[4:7], s[28:29], 0x0
	;; [unrolled: 1-line block ×3, first 2 shown]
	s_mul_i32 s2, s24, s35
	s_mul_hi_u32 s3, s24, s34
	s_mul_i32 s8, s24, s34
	s_add_i32 s3, s3, s2
	s_sub_u32 s36, s30, s8
	s_subb_u32 s37, 0, s3
	s_clause 0x1
	s_load_b64 s[2:3], s[0:1], 0x0
	s_load_b128 s[8:11], s[0:1], 0x60
	v_alignbit_b32 v1, s37, s36, 29
	s_lshl_b64 s[0:1], s[36:37], 3
	s_waitcnt lgkmcnt(0)
	s_delay_alu instid0(VALU_DEP_1)
	v_mul_lo_u32 v2, s18, v1
	v_mul_lo_u32 v1, s6, v1
	s_mul_hi_u32 s17, s18, s0
	s_mul_hi_u32 s37, s6, s0
	s_mul_i32 s36, s18, s0
	v_cmp_lt_u64_e64 s39, s[14:15], 3
	s_mul_i32 s33, s19, s0
	s_mul_i32 s38, s7, s0
	v_dual_mov_b32 v3, s36 :: v_dual_add_nc_u32 v2, s17, v2
	s_mul_i32 s17, s6, s0
	s_delay_alu instid0(SALU_CYCLE_1) | instskip(NEXT) | instid1(VALU_DEP_2)
	v_dual_mov_b32 v19, s17 :: v_dual_add_nc_u32 v4, s37, v1
	v_add_nc_u32_e32 v1, s33, v2
	s_and_b32 vcc_lo, exec_lo, s39
	s_delay_alu instid0(VALU_DEP_2)
	v_add_nc_u32_e32 v20, s38, v4
	s_cbranch_vccnz .LBB0_11
; %bb.3:
	s_add_u32 s36, s28, 16
	s_addc_u32 s37, s29, 0
	s_add_u32 s38, s22, 16
	s_addc_u32 s39, s23, 0
	;; [unrolled: 2-line block ×3, first 2 shown]
	s_mov_b64 s[40:41], 2
	s_mov_b32 s42, 0
	s_branch .LBB0_5
.LBB0_4:                                ;   in Loop: Header=BB0_5 Depth=1
	s_load_b64 s[48:49], s[38:39], 0x0
	s_load_b64 s[50:51], s[36:37], 0x0
	s_mul_i32 s17, s44, s35
	s_mul_hi_u32 s33, s44, s34
	s_mul_i32 s35, s45, s34
	s_mul_i32 s43, s46, s45
	s_mul_hi_u32 s45, s46, s44
	s_mul_i32 s52, s47, s44
	s_add_i32 s17, s33, s17
	s_add_i32 s33, s45, s43
	s_mul_i32 s53, s46, s44
	s_add_i32 s35, s17, s35
	s_add_i32 s33, s33, s52
	s_sub_u32 s17, s24, s53
	s_subb_u32 s24, s25, s33
	s_mul_i32 s34, s44, s34
	s_waitcnt lgkmcnt(0)
	s_mul_i32 s25, s48, s24
	s_mul_hi_u32 s33, s48, s17
	s_mul_i32 s24, s50, s24
	s_mul_hi_u32 s45, s50, s17
	s_mul_i32 s43, s49, s17
	s_add_i32 s25, s33, s25
	s_add_i32 s24, s45, s24
	s_mul_i32 s33, s51, s17
	s_mul_i32 s44, s48, s17
	s_add_i32 s25, s25, s43
	s_add_i32 s24, s24, s33
	v_add_co_u32 v3, vcc_lo, s44, v3
	s_add_u32 s40, s40, 1
	s_mul_i32 s17, s50, s17
	s_addc_u32 s41, s41, 0
	v_add_co_ci_u32_e32 v1, vcc_lo, s25, v1, vcc_lo
	v_add_co_u32 v19, vcc_lo, s17, v19
	v_cmp_ge_u64_e64 s17, s[40:41], s[14:15]
	s_add_u32 s36, s36, 8
	s_addc_u32 s37, s37, 0
	v_add_co_ci_u32_e32 v20, vcc_lo, s24, v20, vcc_lo
	s_add_u32 s38, s38, 8
	s_addc_u32 s39, s39, 0
	s_add_u32 s20, s20, 8
	s_addc_u32 s21, s21, 0
	s_and_b32 vcc_lo, exec_lo, s17
	s_mov_b64 s[24:25], s[46:47]
	s_cbranch_vccnz .LBB0_9
.LBB0_5:                                ; =>This Inner Loop Header: Depth=1
	s_load_b64 s[44:45], s[20:21], 0x0
	s_mov_b32 s17, -1
	s_waitcnt lgkmcnt(0)
	s_or_b64 s[46:47], s[24:25], s[44:45]
	s_delay_alu instid0(SALU_CYCLE_1) | instskip(NEXT) | instid1(SALU_CYCLE_1)
	s_mov_b32 s43, s47
                                        ; implicit-def: $sgpr46_sgpr47
	s_cmp_lg_u64 s[42:43], 0
	s_cbranch_scc0 .LBB0_7
; %bb.6:                                ;   in Loop: Header=BB0_5 Depth=1
	v_cvt_f32_u32_e32 v2, s44
	v_cvt_f32_u32_e32 v4, s45
	s_sub_u32 s43, 0, s44
	s_subb_u32 s46, 0, s45
	s_delay_alu instid0(VALU_DEP_1) | instskip(NEXT) | instid1(VALU_DEP_1)
	v_fmac_f32_e32 v2, 0x4f800000, v4
	v_rcp_f32_e32 v2, v2
	s_waitcnt_depctr 0xfff
	v_mul_f32_e32 v2, 0x5f7ffffc, v2
	s_delay_alu instid0(VALU_DEP_1) | instskip(NEXT) | instid1(VALU_DEP_1)
	v_mul_f32_e32 v4, 0x2f800000, v2
	v_trunc_f32_e32 v4, v4
	s_delay_alu instid0(VALU_DEP_1) | instskip(SKIP_1) | instid1(VALU_DEP_2)
	v_fmac_f32_e32 v2, 0xcf800000, v4
	v_cvt_u32_f32_e32 v4, v4
	v_cvt_u32_f32_e32 v2, v2
	s_delay_alu instid0(VALU_DEP_2) | instskip(NEXT) | instid1(VALU_DEP_2)
	v_readfirstlane_b32 s17, v4
	v_readfirstlane_b32 s33, v2
	s_delay_alu instid0(VALU_DEP_2) | instskip(NEXT) | instid1(VALU_DEP_1)
	s_mul_i32 s47, s43, s17
	s_mul_hi_u32 s49, s43, s33
	s_mul_i32 s48, s46, s33
	s_add_i32 s47, s49, s47
	s_mul_i32 s50, s43, s33
	s_add_i32 s47, s47, s48
	s_mul_hi_u32 s49, s33, s50
	s_mul_hi_u32 s51, s17, s50
	s_mul_i32 s48, s17, s50
	s_mul_hi_u32 s50, s33, s47
	s_mul_i32 s33, s33, s47
	s_mul_hi_u32 s52, s17, s47
	s_add_u32 s33, s49, s33
	s_addc_u32 s49, 0, s50
	s_add_u32 s33, s33, s48
	s_mul_i32 s47, s17, s47
	s_addc_u32 s33, s49, s51
	s_addc_u32 s48, s52, 0
	s_add_u32 s33, s33, s47
	s_addc_u32 s47, 0, s48
	v_add_co_u32 v2, s33, v2, s33
	s_delay_alu instid0(VALU_DEP_1) | instskip(SKIP_1) | instid1(VALU_DEP_1)
	s_cmp_lg_u32 s33, 0
	s_addc_u32 s17, s17, s47
	v_readfirstlane_b32 s33, v2
	s_mul_i32 s47, s43, s17
	s_delay_alu instid0(VALU_DEP_1)
	s_mul_hi_u32 s48, s43, s33
	s_mul_i32 s46, s46, s33
	s_add_i32 s47, s48, s47
	s_mul_i32 s43, s43, s33
	s_add_i32 s47, s47, s46
	s_mul_hi_u32 s48, s17, s43
	s_mul_i32 s49, s17, s43
	s_mul_hi_u32 s43, s33, s43
	s_mul_hi_u32 s50, s33, s47
	s_mul_i32 s33, s33, s47
	s_mul_hi_u32 s46, s17, s47
	s_add_u32 s33, s43, s33
	s_addc_u32 s43, 0, s50
	s_add_u32 s33, s33, s49
	s_mul_i32 s47, s17, s47
	s_addc_u32 s33, s43, s48
	s_addc_u32 s43, s46, 0
	s_add_u32 s33, s33, s47
	s_addc_u32 s43, 0, s43
	v_add_co_u32 v2, s33, v2, s33
	s_delay_alu instid0(VALU_DEP_1) | instskip(SKIP_1) | instid1(VALU_DEP_1)
	s_cmp_lg_u32 s33, 0
	s_addc_u32 s17, s17, s43
	v_readfirstlane_b32 s33, v2
	s_mul_i32 s46, s24, s17
	s_mul_hi_u32 s43, s24, s17
	s_mul_hi_u32 s47, s25, s17
	s_mul_i32 s17, s25, s17
	s_mul_hi_u32 s48, s24, s33
	s_mul_hi_u32 s49, s25, s33
	s_mul_i32 s33, s25, s33
	s_add_u32 s46, s48, s46
	s_addc_u32 s43, 0, s43
	s_add_u32 s33, s46, s33
	s_addc_u32 s33, s43, s49
	s_addc_u32 s43, s47, 0
	s_add_u32 s33, s33, s17
	s_addc_u32 s43, 0, s43
	s_mul_hi_u32 s17, s44, s33
	s_mul_i32 s47, s44, s43
	s_mul_i32 s48, s44, s33
	s_add_i32 s17, s17, s47
	v_sub_co_u32 v2, s47, s24, s48
	s_mul_i32 s46, s45, s33
	s_delay_alu instid0(SALU_CYCLE_1) | instskip(NEXT) | instid1(VALU_DEP_1)
	s_add_i32 s17, s17, s46
	v_sub_co_u32 v4, s48, v2, s44
	s_sub_i32 s46, s25, s17
	s_cmp_lg_u32 s47, 0
	s_subb_u32 s46, s46, s45
	s_cmp_lg_u32 s48, 0
	v_readfirstlane_b32 s48, v4
	s_subb_u32 s46, s46, 0
	s_delay_alu instid0(SALU_CYCLE_1) | instskip(SKIP_1) | instid1(VALU_DEP_1)
	s_cmp_ge_u32 s46, s45
	s_cselect_b32 s49, -1, 0
	s_cmp_ge_u32 s48, s44
	s_cselect_b32 s48, -1, 0
	s_cmp_eq_u32 s46, s45
	s_cselect_b32 s46, s48, s49
	s_add_u32 s48, s33, 1
	s_addc_u32 s49, s43, 0
	s_add_u32 s50, s33, 2
	s_addc_u32 s51, s43, 0
	s_cmp_lg_u32 s46, 0
	s_cselect_b32 s46, s50, s48
	s_cselect_b32 s48, s51, s49
	s_cmp_lg_u32 s47, 0
	v_readfirstlane_b32 s47, v2
	s_subb_u32 s17, s25, s17
	s_delay_alu instid0(SALU_CYCLE_1) | instskip(SKIP_1) | instid1(VALU_DEP_1)
	s_cmp_ge_u32 s17, s45
	s_cselect_b32 s49, -1, 0
	s_cmp_ge_u32 s47, s44
	s_cselect_b32 s47, -1, 0
	s_cmp_eq_u32 s17, s45
	s_cselect_b32 s17, s47, s49
	s_delay_alu instid0(SALU_CYCLE_1)
	s_cmp_lg_u32 s17, 0
	s_mov_b32 s17, 0
	s_cselect_b32 s47, s48, s43
	s_cselect_b32 s46, s46, s33
.LBB0_7:                                ;   in Loop: Header=BB0_5 Depth=1
	s_and_not1_b32 vcc_lo, exec_lo, s17
	s_cbranch_vccnz .LBB0_4
; %bb.8:                                ;   in Loop: Header=BB0_5 Depth=1
	v_cvt_f32_u32_e32 v2, s44
	s_sub_i32 s33, 0, s44
	s_mov_b32 s47, s42
	s_delay_alu instid0(VALU_DEP_1) | instskip(SKIP_2) | instid1(VALU_DEP_1)
	v_rcp_iflag_f32_e32 v2, v2
	s_waitcnt_depctr 0xfff
	v_mul_f32_e32 v2, 0x4f7ffffe, v2
	v_cvt_u32_f32_e32 v2, v2
	s_delay_alu instid0(VALU_DEP_1) | instskip(NEXT) | instid1(VALU_DEP_1)
	v_readfirstlane_b32 s17, v2
	s_mul_i32 s33, s33, s17
	s_delay_alu instid0(SALU_CYCLE_1) | instskip(NEXT) | instid1(SALU_CYCLE_1)
	s_mul_hi_u32 s33, s17, s33
	s_add_i32 s17, s17, s33
	s_delay_alu instid0(SALU_CYCLE_1) | instskip(NEXT) | instid1(SALU_CYCLE_1)
	s_mul_hi_u32 s17, s24, s17
	s_mul_i32 s33, s17, s44
	s_add_i32 s43, s17, 1
	s_sub_i32 s33, s24, s33
	s_delay_alu instid0(SALU_CYCLE_1)
	s_sub_i32 s46, s33, s44
	s_cmp_ge_u32 s33, s44
	s_cselect_b32 s17, s43, s17
	s_cselect_b32 s33, s46, s33
	s_add_i32 s43, s17, 1
	s_cmp_ge_u32 s33, s44
	s_cselect_b32 s46, s43, s17
	s_branch .LBB0_4
.LBB0_9:
	v_cmp_lt_u64_e64 s17, s[30:31], s[34:35]
	s_mov_b64 s[24:25], 0
	s_delay_alu instid0(VALU_DEP_1)
	s_and_b32 vcc_lo, exec_lo, s17
	s_cbranch_vccnz .LBB0_11
; %bb.10:
	v_cvt_f32_u32_e32 v1, s34
	s_sub_i32 s20, 0, s34
	s_delay_alu instid0(VALU_DEP_1) | instskip(SKIP_2) | instid1(VALU_DEP_1)
	v_rcp_iflag_f32_e32 v1, v1
	s_waitcnt_depctr 0xfff
	v_mul_f32_e32 v1, 0x4f7ffffe, v1
	v_cvt_u32_f32_e32 v1, v1
	s_delay_alu instid0(VALU_DEP_1) | instskip(NEXT) | instid1(VALU_DEP_1)
	v_readfirstlane_b32 s17, v1
	s_mul_i32 s20, s20, s17
	s_delay_alu instid0(SALU_CYCLE_1) | instskip(NEXT) | instid1(SALU_CYCLE_1)
	s_mul_hi_u32 s20, s17, s20
	s_add_i32 s17, s17, s20
	s_delay_alu instid0(SALU_CYCLE_1) | instskip(NEXT) | instid1(SALU_CYCLE_1)
	s_mul_hi_u32 s17, s30, s17
	s_mul_i32 s20, s17, s34
	s_add_i32 s21, s17, 1
	s_sub_i32 s20, s30, s20
	s_delay_alu instid0(SALU_CYCLE_1)
	s_sub_i32 s24, s20, s34
	s_cmp_ge_u32 s20, s34
	s_cselect_b32 s17, s21, s17
	s_cselect_b32 s20, s24, s20
	s_add_i32 s21, s17, 1
	s_cmp_ge_u32 s20, s34
	s_cselect_b32 s24, s21, s17
.LBB0_11:
	v_dual_mov_b32 v6, 0 :: v_dual_and_b32 v21, 7, v0
	s_lshl_b64 s[14:15], s[14:15], 3
	v_mov_b32_e32 v13, s1
	v_cmp_gt_u32_e32 vcc_lo, 0xf0, v0
	s_delay_alu instid0(VALU_DEP_3)
	v_or_b32_e32 v12, s0, v21
	s_add_u32 s20, s22, s14
	s_addc_u32 s21, s23, s15
	s_add_u32 s14, s28, s14
	s_load_b64 s[20:21], s[20:21], 0x0
	s_addc_u32 s15, s29, s15
	s_add_u32 s22, s0, 8
	v_cndmask_b32_e64 v4, 0, 1, vcc_lo
	v_cmp_gt_u64_e32 vcc_lo, s[26:27], v[12:13]
	s_addc_u32 s23, s1, 0
	v_cmp_lt_u32_e64 s0, 0xef, v0
	v_cmp_le_u64_e64 s17, s[22:23], s[26:27]
	v_mad_u64_u32 v[1:2], null, s18, v21, 0
	v_cndmask_b32_e64 v5, 0, 1, vcc_lo
	v_lshrrev_b32_e32 v22, 3, v0
	v_mov_b32_e32 v7, 0
	s_or_b32 s0, s0, s17
	s_delay_alu instid0(VALU_DEP_3) | instid1(SALU_CYCLE_1)
	v_cndmask_b32_e64 v4, v5, v4, s0
	s_waitcnt lgkmcnt(0)
	s_mul_i32 s0, s20, s24
	s_delay_alu instid0(VALU_DEP_1) | instskip(SKIP_2) | instid1(VALU_DEP_3)
	v_and_b32_e32 v5, 1, v4
	v_add_co_u32 v24, null, s0, v3
	v_mad_u64_u32 v[3:4], null, s19, v21, v[2:3]
	v_cmp_eq_u32_e64 s0, 1, v5
	v_mov_b32_e32 v5, 0
	s_delay_alu instid0(VALU_DEP_2)
	s_and_saveexec_b32 s18, s0
	s_cbranch_execz .LBB0_13
; %bb.12:
	v_mul_lo_u32 v2, s16, v22
	v_mov_b32_e32 v3, 0
	s_delay_alu instid0(VALU_DEP_2) | instskip(NEXT) | instid1(VALU_DEP_1)
	v_add3_u32 v2, v24, v1, v2
	v_lshlrev_b64 v[2:3], 3, v[2:3]
	s_delay_alu instid0(VALU_DEP_1) | instskip(NEXT) | instid1(VALU_DEP_1)
	v_add_co_u32 v2, s1, s8, v2
	v_add_co_ci_u32_e64 v3, s1, s9, v3, s1
	global_load_b64 v[6:7], v[2:3], off
.LBB0_13:
	s_or_b32 exec_lo, exec_lo, s18
	v_mov_b32_e32 v4, 0
	s_and_saveexec_b32 s18, s0
	s_cbranch_execz .LBB0_15
; %bb.14:
	v_dual_mov_b32 v3, 0 :: v_dual_add_nc_u32 v2, 30, v22
	s_delay_alu instid0(VALU_DEP_1) | instskip(NEXT) | instid1(VALU_DEP_1)
	v_mul_lo_u32 v2, s16, v2
	v_add3_u32 v2, v24, v1, v2
	s_delay_alu instid0(VALU_DEP_1) | instskip(NEXT) | instid1(VALU_DEP_1)
	v_lshlrev_b64 v[2:3], 3, v[2:3]
	v_add_co_u32 v2, s1, s8, v2
	s_delay_alu instid0(VALU_DEP_1)
	v_add_co_ci_u32_e64 v3, s1, s9, v3, s1
	global_load_b64 v[4:5], v[2:3], off
.LBB0_15:
	s_or_b32 exec_lo, exec_lo, s18
	v_dual_mov_b32 v11, 0 :: v_dual_mov_b32 v8, 0
	v_mov_b32_e32 v9, 0
	s_and_saveexec_b32 s18, s0
	s_cbranch_execz .LBB0_17
; %bb.16:
	v_dual_mov_b32 v3, 0 :: v_dual_add_nc_u32 v2, 60, v22
	s_delay_alu instid0(VALU_DEP_1) | instskip(NEXT) | instid1(VALU_DEP_1)
	v_mul_lo_u32 v2, s16, v2
	v_add3_u32 v2, v24, v1, v2
	s_delay_alu instid0(VALU_DEP_1) | instskip(NEXT) | instid1(VALU_DEP_1)
	v_lshlrev_b64 v[2:3], 3, v[2:3]
	v_add_co_u32 v2, s1, s8, v2
	s_delay_alu instid0(VALU_DEP_1)
	v_add_co_ci_u32_e64 v3, s1, s9, v3, s1
	global_load_b64 v[8:9], v[2:3], off
.LBB0_17:
	s_or_b32 exec_lo, exec_lo, s18
	v_mov_b32_e32 v10, 0
	s_and_saveexec_b32 s18, s0
	s_cbranch_execz .LBB0_19
; %bb.18:
	v_dual_mov_b32 v3, 0 :: v_dual_add_nc_u32 v2, 0x5a, v22
	s_delay_alu instid0(VALU_DEP_1) | instskip(NEXT) | instid1(VALU_DEP_1)
	v_mul_lo_u32 v2, s16, v2
	v_add3_u32 v2, v24, v1, v2
	s_delay_alu instid0(VALU_DEP_1) | instskip(NEXT) | instid1(VALU_DEP_1)
	v_lshlrev_b64 v[2:3], 3, v[2:3]
	v_add_co_u32 v2, s1, s8, v2
	s_delay_alu instid0(VALU_DEP_1)
	v_add_co_ci_u32_e64 v3, s1, s9, v3, s1
	global_load_b64 v[10:11], v[2:3], off
.LBB0_19:
	s_or_b32 exec_lo, exec_lo, s18
	v_dual_mov_b32 v14, 0 :: v_dual_add_nc_u32 v23, 0x78, v22
	v_mov_b32_e32 v3, 0
	v_mov_b32_e32 v13, 0
	s_and_saveexec_b32 s18, s0
	s_cbranch_execz .LBB0_21
; %bb.20:
	v_mul_lo_u32 v2, s16, v23
	s_delay_alu instid0(VALU_DEP_1) | instskip(NEXT) | instid1(VALU_DEP_1)
	v_add3_u32 v2, v24, v1, v2
	v_lshlrev_b64 v[13:14], 3, v[2:3]
	s_delay_alu instid0(VALU_DEP_1) | instskip(NEXT) | instid1(VALU_DEP_1)
	v_add_co_u32 v13, s1, s8, v13
	v_add_co_ci_u32_e64 v14, s1, s9, v14, s1
	global_load_b64 v[13:14], v[13:14], off
.LBB0_21:
	s_or_b32 exec_lo, exec_lo, s18
	v_mov_b32_e32 v2, 0
	s_and_saveexec_b32 s18, s0
	s_cbranch_execz .LBB0_23
; %bb.22:
	v_dual_mov_b32 v3, 0 :: v_dual_add_nc_u32 v2, 0x96, v22
	s_delay_alu instid0(VALU_DEP_1) | instskip(NEXT) | instid1(VALU_DEP_1)
	v_mul_lo_u32 v2, s16, v2
	v_add3_u32 v2, v24, v1, v2
	s_delay_alu instid0(VALU_DEP_1) | instskip(NEXT) | instid1(VALU_DEP_1)
	v_lshlrev_b64 v[2:3], 3, v[2:3]
	v_add_co_u32 v2, s1, s8, v2
	s_delay_alu instid0(VALU_DEP_1)
	v_add_co_ci_u32_e64 v3, s1, s9, v3, s1
	global_load_b64 v[2:3], v[2:3], off
.LBB0_23:
	s_or_b32 exec_lo, exec_lo, s18
	v_dual_mov_b32 v16, 0 :: v_dual_mov_b32 v17, 0
	v_mov_b32_e32 v18, 0
	s_and_saveexec_b32 s18, s0
	s_cbranch_execz .LBB0_25
; %bb.24:
	v_dual_mov_b32 v18, 0 :: v_dual_add_nc_u32 v15, 0xb4, v22
	s_delay_alu instid0(VALU_DEP_1) | instskip(NEXT) | instid1(VALU_DEP_1)
	v_mul_lo_u32 v15, s16, v15
	v_add3_u32 v17, v24, v1, v15
	s_delay_alu instid0(VALU_DEP_1) | instskip(NEXT) | instid1(VALU_DEP_1)
	v_lshlrev_b64 v[17:18], 3, v[17:18]
	v_add_co_u32 v17, s1, s8, v17
	s_delay_alu instid0(VALU_DEP_1)
	v_add_co_ci_u32_e64 v18, s1, s9, v18, s1
	global_load_b64 v[17:18], v[17:18], off
.LBB0_25:
	s_or_b32 exec_lo, exec_lo, s18
	v_mov_b32_e32 v15, 0
	s_and_saveexec_b32 s1, s0
	s_cbranch_execz .LBB0_27
; %bb.26:
	v_dual_mov_b32 v16, 0 :: v_dual_add_nc_u32 v15, 0xd2, v22
	s_delay_alu instid0(VALU_DEP_1) | instskip(NEXT) | instid1(VALU_DEP_1)
	v_mul_lo_u32 v15, s16, v15
	v_add3_u32 v15, v24, v1, v15
	s_delay_alu instid0(VALU_DEP_1) | instskip(NEXT) | instid1(VALU_DEP_1)
	v_lshlrev_b64 v[15:16], 3, v[15:16]
	v_add_co_u32 v15, s0, s8, v15
	s_delay_alu instid0(VALU_DEP_1)
	v_add_co_ci_u32_e64 v16, s0, s9, v16, s0
	global_load_b64 v[15:16], v[15:16], off
.LBB0_27:
	s_or_b32 exec_lo, exec_lo, s1
	s_waitcnt vmcnt(0)
	v_dual_sub_f32 v26, v7, v14 :: v_dual_sub_f32 v17, v8, v17
	v_dual_sub_f32 v24, v6, v13 :: v_dual_sub_f32 v29, v4, v2
	;; [unrolled: 1-line block ×3, first 2 shown]
	s_delay_alu instid0(VALU_DEP_3) | instskip(NEXT) | instid1(VALU_DEP_2)
	v_dual_sub_f32 v18, v5, v3 :: v_dual_add_f32 v27, v26, v17
	v_dual_sub_f32 v31, v10, v15 :: v_dual_sub_f32 v14, v24, v28
	s_delay_alu instid0(VALU_DEP_3) | instskip(NEXT) | instid1(VALU_DEP_3)
	v_dual_sub_f32 v32, v29, v25 :: v_dual_lshlrev_b32 v13, 6, v22
	v_fma_f32 v16, v26, 2.0, -v27
	s_delay_alu instid0(VALU_DEP_3) | instskip(NEXT) | instid1(VALU_DEP_4)
	v_add_f32_e32 v30, v18, v31
	v_fma_f32 v15, v24, 2.0, -v14
	s_delay_alu instid0(VALU_DEP_4) | instskip(SKIP_1) | instid1(VALU_DEP_4)
	v_fma_f32 v1, v29, 2.0, -v32
	v_cmp_lt_u32_e64 s0, 0xef, v0
	v_fma_f32 v33, v18, 2.0, -v30
	s_delay_alu instid0(VALU_DEP_3) | instskip(NEXT) | instid1(VALU_DEP_2)
	v_fmamk_f32 v2, v1, 0xbf3504f3, v15
	v_fmamk_f32 v3, v33, 0xbf3504f3, v16
	s_delay_alu instid0(VALU_DEP_4) | instskip(NEXT) | instid1(SALU_CYCLE_1)
	s_and_saveexec_b32 s1, s0
	s_xor_b32 s0, exec_lo, s1
; %bb.28:
	v_lshlrev_b32_e32 v13, 6, v22
                                        ; implicit-def: $vgpr7
                                        ; implicit-def: $vgpr5
                                        ; implicit-def: $vgpr9
                                        ; implicit-def: $vgpr11
                                        ; implicit-def: $vgpr24
                                        ; implicit-def: $vgpr26
                                        ; implicit-def: $vgpr17
                                        ; implicit-def: $vgpr28
                                        ; implicit-def: $vgpr29
                                        ; implicit-def: $vgpr18
                                        ; implicit-def: $vgpr31
                                        ; implicit-def: $vgpr25
                                        ; implicit-def: $vgpr14
                                        ; implicit-def: $vgpr27
                                        ; implicit-def: $vgpr15
                                        ; implicit-def: $vgpr16
                                        ; implicit-def: $vgpr32
                                        ; implicit-def: $vgpr30
; %bb.29:
	s_or_saveexec_b32 s0, s0
	s_load_b64 s[8:9], s[14:15], 0x0
	v_fmac_f32_e32 v2, 0xbf3504f3, v33
	v_fmac_f32_e32 v3, 0x3f3504f3, v1
	v_lshlrev_b32_e32 v1, 3, v21
	s_xor_b32 exec_lo, exec_lo, s0
	s_cbranch_execz .LBB0_31
; %bb.30:
	v_fma_f32 v26, v7, 2.0, -v26
	v_fma_f32 v7, v9, 2.0, -v28
	;; [unrolled: 1-line block ×6, first 2 shown]
	v_dual_fmamk_f32 v33, v30, 0x3f3504f3, v27 :: v_dual_fmamk_f32 v34, v32, 0x3f3504f3, v14
	v_fma_f32 v10, v5, 2.0, -v18
	v_fma_f32 v11, v11, 2.0, -v25
	s_delay_alu instid0(VALU_DEP_4) | instskip(SKIP_2) | instid1(VALU_DEP_4)
	v_dual_sub_f32 v9, v4, v9 :: v_dual_sub_f32 v8, v6, v8
	v_fma_f32 v16, v16, 2.0, -v3
	v_fma_f32 v15, v15, 2.0, -v2
	v_sub_f32_e32 v11, v10, v11
	v_fmac_f32_e32 v33, 0x3f3504f3, v32
	v_fma_f32 v24, v6, 2.0, -v8
	v_fma_f32 v25, v4, 2.0, -v9
	v_sub_f32_e32 v17, v26, v7
	v_fmamk_f32 v32, v30, 0xbf3504f3, v34
	s_delay_alu instid0(VALU_DEP_2) | instskip(NEXT) | instid1(VALU_DEP_2)
	v_fma_f32 v18, v26, 2.0, -v17
	v_fma_f32 v4, v14, 2.0, -v32
	v_lshlrev_b32_e32 v14, 9, v22
	v_fma_f32 v10, v10, 2.0, -v11
	v_sub_f32_e32 v6, v8, v11
	v_fma_f32 v5, v27, 2.0, -v33
	s_delay_alu instid0(VALU_DEP_4) | instskip(NEXT) | instid1(VALU_DEP_4)
	v_add3_u32 v14, 0, v14, v1
	v_dual_sub_f32 v11, v18, v10 :: v_dual_sub_f32 v10, v24, v25
	v_add_f32_e32 v7, v17, v9
	v_fma_f32 v8, v8, 2.0, -v6
	s_delay_alu instid0(VALU_DEP_3) | instskip(NEXT) | instid1(VALU_DEP_3)
	v_fma_f32 v18, v18, 2.0, -v11
	v_fma_f32 v9, v17, 2.0, -v7
	;; [unrolled: 1-line block ×3, first 2 shown]
	ds_store_2addr_b64 v14, v[17:18], v[15:16] offset1:8
	ds_store_2addr_b64 v14, v[8:9], v[4:5] offset0:16 offset1:24
	ds_store_2addr_b64 v14, v[10:11], v[2:3] offset0:32 offset1:40
	;; [unrolled: 1-line block ×3, first 2 shown]
.LBB0_31:
	s_or_b32 exec_lo, exec_lo, s0
	v_bfe_u32 v8, v0, 3, 3
	s_waitcnt lgkmcnt(0)
	s_barrier
	buffer_gl0_inv
	v_add3_u32 v13, 0, v13, v1
	v_lshlrev_b32_e32 v9, 5, v8
	v_cmp_gt_u32_e64 s0, 0x140, v0
	s_clause 0x1
	global_load_b128 v[4:7], v9, s[2:3]
	global_load_b128 v[14:17], v9, s[2:3] offset:16
	v_lshrrev_b32_e32 v9, 6, v0
	ds_load_2addr_stride64_b64 v[24:27], v13 offset0:6 offset1:12
	ds_load_2addr_stride64_b64 v[28:31], v13 offset0:18 offset1:24
	ds_load_2addr_b32 v[10:11], v13 offset1:1
	s_waitcnt vmcnt(0) lgkmcnt(0)
	s_barrier
	v_mul_u32_u24_e32 v9, 40, v9
	buffer_gl0_inv
	v_or_b32_e32 v8, v9, v8
	s_delay_alu instid0(VALU_DEP_1) | instskip(NEXT) | instid1(VALU_DEP_1)
	v_lshlrev_b32_e32 v8, 6, v8
	v_add3_u32 v18, 0, v8, v1
	v_mul_f32_e32 v0, v5, v25
	v_dual_mul_f32 v1, v5, v24 :: v_dual_mul_f32 v8, v15, v29
	v_mul_f32_e32 v5, v7, v27
	s_delay_alu instid0(VALU_DEP_3) | instskip(SKIP_1) | instid1(VALU_DEP_4)
	v_fma_f32 v0, v4, v24, -v0
	v_mul_f32_e32 v9, v15, v28
	v_fmac_f32_e32 v1, v4, v25
	s_delay_alu instid0(VALU_DEP_4) | instskip(SKIP_1) | instid1(VALU_DEP_2)
	v_fma_f32 v4, v6, v26, -v5
	v_fma_f32 v5, v14, v28, -v8
	v_dual_mul_f32 v7, v7, v26 :: v_dual_sub_f32 v24, v0, v4
	s_delay_alu instid0(VALU_DEP_1) | instskip(SKIP_3) | instid1(VALU_DEP_2)
	v_dual_add_f32 v8, v4, v5 :: v_dual_fmac_f32 v7, v6, v27
	v_dual_add_f32 v6, v0, v10 :: v_dual_fmac_f32 v9, v14, v29
	v_mul_f32_e32 v15, v17, v31
	v_mul_f32_e32 v17, v17, v30
	v_fma_f32 v14, v16, v30, -v15
	s_delay_alu instid0(VALU_DEP_1) | instskip(NEXT) | instid1(VALU_DEP_3)
	v_add_f32_e32 v26, v0, v14
	v_dual_fmac_f32 v17, v16, v31 :: v_dual_add_f32 v30, v7, v9
	v_dual_sub_f32 v27, v4, v0 :: v_dual_sub_f32 v28, v5, v14
	v_dual_sub_f32 v32, v4, v5 :: v_dual_sub_f32 v33, v1, v7
	s_delay_alu instid0(VALU_DEP_3)
	v_sub_f32_e32 v34, v17, v9
	v_dual_sub_f32 v15, v1, v17 :: v_dual_add_f32 v4, v6, v4
	v_dual_sub_f32 v31, v0, v14 :: v_dual_sub_f32 v36, v7, v1
	v_fma_f32 v0, -0.5, v8, v10
	v_add_f32_e32 v29, v11, v1
	v_fma_f32 v10, -0.5, v26, v10
	v_add_f32_e32 v26, v33, v34
	v_sub_f32_e32 v16, v7, v9
	v_add_f32_e32 v35, v1, v17
	v_dual_sub_f32 v25, v14, v5 :: v_dual_fmamk_f32 v6, v15, 0x3f737871, v0
	v_fma_f32 v1, -0.5, v30, v11
	v_add_f32_e32 v4, v4, v5
	v_fmac_f32_e32 v0, 0xbf737871, v15
	v_dual_add_f32 v7, v29, v7 :: v_dual_fmamk_f32 v8, v16, 0xbf737871, v10
	s_delay_alu instid0(VALU_DEP_3) | instskip(SKIP_1) | instid1(VALU_DEP_3)
	v_dual_fmac_f32 v11, -0.5, v35 :: v_dual_add_f32 v4, v4, v14
	v_dual_sub_f32 v37, v9, v17 :: v_dual_fmac_f32 v10, 0x3f737871, v16
	v_dual_add_f32 v5, v7, v9 :: v_dual_fmac_f32 v0, 0xbf167918, v16
	v_fmamk_f32 v7, v31, 0xbf737871, v1
	v_fmac_f32_e32 v1, 0x3f737871, v31
	v_fmamk_f32 v9, v32, 0x3f737871, v11
	v_dual_fmac_f32 v11, 0xbf737871, v32 :: v_dual_add_f32 v24, v24, v25
	v_add_f32_e32 v25, v27, v28
	v_dual_add_f32 v27, v36, v37 :: v_dual_fmac_f32 v6, 0x3f167918, v16
	v_dual_fmac_f32 v8, 0x3f167918, v15 :: v_dual_add_f32 v5, v5, v17
	v_dual_fmac_f32 v10, 0xbf167918, v15 :: v_dual_fmac_f32 v7, 0xbf167918, v32
	v_fmac_f32_e32 v1, 0x3f167918, v32
	v_fmac_f32_e32 v9, 0xbf167918, v31
	v_fmac_f32_e32 v11, 0x3f167918, v31
	s_delay_alu instid0(VALU_DEP_4) | instskip(NEXT) | instid1(VALU_DEP_3)
	v_dual_fmac_f32 v6, 0x3e9e377a, v24 :: v_dual_fmac_f32 v7, 0x3e9e377a, v26
	v_dual_fmac_f32 v0, 0x3e9e377a, v24 :: v_dual_fmac_f32 v9, 0x3e9e377a, v27
	s_delay_alu instid0(VALU_DEP_3)
	v_dual_fmac_f32 v8, 0x3e9e377a, v25 :: v_dual_fmac_f32 v11, 0x3e9e377a, v27
	v_dual_fmac_f32 v10, 0x3e9e377a, v25 :: v_dual_fmac_f32 v1, 0x3e9e377a, v26
	ds_store_2addr_stride64_b64 v18, v[4:5], v[6:7] offset1:1
	ds_store_2addr_stride64_b64 v18, v[8:9], v[10:11] offset0:2 offset1:3
	ds_store_b64 v18, v[0:1] offset:2048
	s_waitcnt lgkmcnt(0)
	s_barrier
	buffer_gl0_inv
	s_and_saveexec_b32 s1, s0
	s_cbranch_execz .LBB0_33
; %bb.32:
	ds_load_2addr_stride64_b64 v[4:7], v13 offset1:5
	ds_load_2addr_stride64_b64 v[8:11], v13 offset0:10 offset1:15
	ds_load_2addr_stride64_b64 v[0:3], v13 offset0:20 offset1:25
.LBB0_33:
	s_or_b32 exec_lo, exec_lo, s1
	v_mul_lo_u16 v13, v22, 13
	s_mul_i32 s1, s9, s24
	s_delay_alu instid0(VALU_DEP_1) | instskip(NEXT) | instid1(VALU_DEP_1)
	v_lshrrev_b16 v13, 9, v13
	v_mul_lo_u16 v13, v13, 40
	s_delay_alu instid0(VALU_DEP_1) | instskip(NEXT) | instid1(VALU_DEP_1)
	v_sub_nc_u16 v13, v22, v13
	v_and_b32_e32 v13, 0xff, v13
	s_delay_alu instid0(VALU_DEP_1) | instskip(SKIP_1) | instid1(VALU_DEP_2)
	v_mul_u32_u24_e32 v14, 5, v13
	v_add_nc_u32_e32 v17, 0x50, v13
	v_lshlrev_b32_e32 v14, 3, v14
	s_delay_alu instid0(VALU_DEP_2)
	v_mul_lo_u32 v33, v12, v17
	s_clause 0x1
	global_load_b128 v[24:27], v14, s[2:3] offset:272
	global_load_b128 v[28:31], v14, s[2:3] offset:256
	v_add_nc_u32_e32 v18, 0x78, v13
	v_and_b32_e32 v37, 0xff, v33
	v_lshrrev_b32_e32 v38, 5, v33
	s_delay_alu instid0(VALU_DEP_3)
	v_mul_lo_u32 v34, v12, v18
	global_load_b64 v[17:18], v14, s[2:3] offset:288
	s_mul_hi_u32 s2, s8, s24
	s_mul_i32 s3, s8, s24
	s_add_i32 s2, s2, s1
	v_lshrrev_b32_e32 v40, 5, v34
	s_waitcnt vmcnt(2) lgkmcnt(0)
	v_dual_mul_f32 v57, v1, v27 :: v_dual_mul_f32 v56, v11, v25
	v_dual_mul_f32 v25, v10, v25 :: v_dual_and_b32 v42, 0x7f8, v38
	v_mul_f32_e32 v27, v0, v27
	s_delay_alu instid0(VALU_DEP_3) | instskip(SKIP_1) | instid1(VALU_DEP_4)
	v_fma_f32 v0, v0, v26, -v57
	v_and_b32_e32 v39, 0xff, v34
	v_fmac_f32_e32 v25, v11, v24
	s_waitcnt vmcnt(0)
	v_mul_f32_e32 v58, v3, v18
	v_mul_lo_u32 v15, v12, v13
	v_add_nc_u32_e32 v16, 40, v13
	v_add_nc_u32_e32 v32, 0xa0, v13
	v_dual_mul_f32 v18, v2, v18 :: v_dual_add_nc_u32 v13, 0xc8, v13
	v_dual_fmac_f32 v27, v1, v26 :: v_dual_lshlrev_b32 v44, 3, v39
	s_delay_alu instid0(VALU_DEP_4) | instskip(SKIP_4) | instid1(VALU_DEP_4)
	v_mul_lo_u32 v16, v12, v16
	v_and_b32_e32 v35, 0xff, v15
	v_lshrrev_b32_e32 v15, 5, v15
	v_mul_lo_u32 v14, v12, v32
	v_mul_lo_u32 v12, v12, v13
	v_dual_fmac_f32 v18, v3, v17 :: v_dual_lshlrev_b32 v13, 3, v35
	s_delay_alu instid0(VALU_DEP_4)
	v_and_b32_e32 v15, 0x7f8, v15
	v_and_b32_e32 v36, 0xff, v16
	s_clause 0x1
	global_load_b64 v[32:33], v13, s[12:13]
	global_load_b64 v[34:35], v15, s[12:13] offset:2048
	v_lshrrev_b32_e32 v16, 5, v16
	v_lshlrev_b32_e32 v36, 3, v36
	v_and_b32_e32 v13, 0xff, v14
	v_lshrrev_b32_e32 v14, 5, v14
	v_fma_f32 v1, v2, v17, -v58
	v_and_b32_e32 v15, 0xff, v12
	v_lshrrev_b32_e32 v12, 5, v12
	v_and_b32_e32 v16, 0x7f8, v16
	v_and_b32_e32 v46, 0x7f8, v40
	v_lshlrev_b32_e32 v13, 3, v13
	v_and_b32_e32 v14, 0x7f8, v14
	v_lshlrev_b32_e32 v15, 3, v15
	v_and_b32_e32 v12, 0x7f8, v12
	s_waitcnt vmcnt(0)
	v_dual_mul_f32 v2, v33, v35 :: v_dual_lshlrev_b32 v41, 3, v37
	v_mul_f32_e32 v3, v32, v35
	s_clause 0x9
	global_load_b64 v[36:37], v36, s[12:13]
	global_load_b64 v[38:39], v16, s[12:13] offset:2048
	global_load_b64 v[40:41], v41, s[12:13]
	global_load_b64 v[42:43], v42, s[12:13] offset:2048
	;; [unrolled: 2-line block ×5, first 2 shown]
	v_add_co_u32 v12, s1, s3, v19
	s_delay_alu instid0(VALU_DEP_1) | instskip(SKIP_4) | instid1(VALU_DEP_4)
	v_add_co_ci_u32_e64 v13, s1, s2, v20, s1
	v_mul_f32_e32 v19, v7, v29
	v_dual_mul_f32 v20, v6, v29 :: v_dual_mul_f32 v29, v9, v31
	v_mul_f32_e32 v31, v8, v31
	v_add_nc_u32_e32 v15, 0x50, v22
	v_fma_f32 v6, v6, v28, -v19
	s_delay_alu instid0(VALU_DEP_4)
	v_fmac_f32_e32 v20, v7, v28
	v_fma_f32 v7, v8, v30, -v29
	v_fmac_f32_e32 v31, v9, v30
	v_fma_f32 v8, v10, v24, -v56
	v_add_nc_u32_e32 v16, 40, v22
	v_add_nc_u32_e32 v14, 0xa0, v22
	v_add_f32_e32 v10, v7, v0
	v_add_f32_e32 v19, v31, v27
	;; [unrolled: 1-line block ×3, first 2 shown]
	v_sub_f32_e32 v11, v31, v27
	v_dual_add_f32 v17, v5, v31 :: v_dual_add_f32 v24, v6, v8
	v_dual_add_f32 v26, v8, v1 :: v_dual_sub_f32 v7, v7, v0
	v_dual_sub_f32 v28, v25, v18 :: v_dual_add_f32 v29, v20, v25
	v_add_f32_e32 v0, v9, v0
	v_sub_f32_e32 v8, v8, v1
	v_fma_f32 v2, v32, v34, -v2
	v_lshlrev_b64 v[12:13], 3, v[12:13]
	s_and_b32 s1, s0, s17
	v_fmac_f32_e32 v4, -0.5, v10
	v_add_f32_e32 v25, v25, v18
	v_dual_add_f32 v1, v24, v1 :: v_dual_fmac_f32 v6, -0.5, v26
	v_add_f32_e32 v10, v29, v18
	s_delay_alu instid0(VALU_DEP_4)
	v_fmamk_f32 v26, v11, 0x3f5db3d7, v4
	v_fmac_f32_e32 v4, 0xbf5db3d7, v11
	v_fmac_f32_e32 v5, -0.5, v19
	v_dual_fmac_f32 v3, v33, v34 :: v_dual_fmac_f32 v20, -0.5, v25
	v_add_f32_e32 v9, v17, v27
	s_waitcnt vmcnt(8)
	v_mul_f32_e32 v31, v36, v39
	v_mul_f32_e32 v30, v37, v39
	s_waitcnt vmcnt(6)
	v_mul_f32_e32 v32, v41, v43
	v_mul_f32_e32 v33, v40, v43
	;; [unrolled: 3-line block ×3, first 2 shown]
	s_waitcnt vmcnt(2)
	v_mul_f32_e32 v39, v49, v51
	v_fmamk_f32 v27, v7, 0xbf5db3d7, v5
	v_fmac_f32_e32 v5, 0x3f5db3d7, v7
	v_fmamk_f32 v7, v28, 0x3f5db3d7, v6
	v_dual_fmac_f32 v6, 0xbf5db3d7, v28 :: v_dual_mul_f32 v43, v48, v51
	s_waitcnt vmcnt(0)
	v_dual_mul_f32 v47, v53, v55 :: v_dual_fmamk_f32 v28, v8, 0xbf5db3d7, v20
	v_fma_f32 v18, v40, v42, -v32
	v_fmac_f32_e32 v20, 0x3f5db3d7, v8
	v_dual_mul_f32 v32, -0.5, v6 :: v_dual_mul_f32 v51, v52, v55
	v_fma_f32 v17, v36, v38, -v30
	v_dual_mul_f32 v30, 0x3f5db3d7, v28 :: v_dual_fmac_f32 v33, v41, v42
	s_delay_alu instid0(VALU_DEP_4) | instskip(NEXT) | instid1(VALU_DEP_4)
	v_dual_mul_f32 v36, -0.5, v20 :: v_dual_fmac_f32 v43, v49, v50
	v_fmac_f32_e32 v32, 0x3f5db3d7, v20
	v_dual_add_f32 v8, v0, v1 :: v_dual_add_f32 v29, v9, v10
	v_fma_f32 v19, v44, v46, -v34
	v_dual_sub_f32 v0, v0, v1 :: v_dual_sub_f32 v9, v9, v10
	s_delay_alu instid0(VALU_DEP_3)
	v_dual_mul_f32 v11, v8, v3 :: v_dual_fmac_f32 v36, 0xbf5db3d7, v6
	v_add_f32_e32 v6, v4, v32
	v_mul_f32_e32 v10, v29, v3
	v_dual_fmac_f32 v31, v37, v38 :: v_dual_mul_f32 v34, 0xbf5db3d7, v7
	v_dual_fmac_f32 v35, v45, v46 :: v_dual_fmac_f32 v30, 0.5, v7
	v_fmac_f32_e32 v51, v53, v54
	s_delay_alu instid0(VALU_DEP_4) | instskip(NEXT) | instid1(VALU_DEP_3)
	v_fma_f32 v10, v8, v2, -v10
	v_dual_fmac_f32 v34, 0.5, v28 :: v_dual_mul_f32 v1, v0, v35
	s_delay_alu instid0(VALU_DEP_4)
	v_sub_f32_e32 v20, v26, v30
	v_fmac_f32_e32 v11, v29, v2
	v_add_f32_e32 v2, v26, v30
	v_dual_sub_f32 v26, v4, v32 :: v_dual_mul_f32 v3, v9, v35
	v_dual_add_f32 v8, v27, v34 :: v_dual_fmac_f32 v1, v9, v19
	v_dual_sub_f32 v27, v27, v34 :: v_dual_sub_f32 v28, v5, v36
	s_delay_alu instid0(VALU_DEP_3) | instskip(SKIP_2) | instid1(VALU_DEP_4)
	v_fma_f32 v0, v0, v19, -v3
	v_add_f32_e32 v19, v5, v36
	v_fma_f32 v24, v48, v50, -v39
	v_mul_f32_e32 v30, v27, v43
	v_fma_f32 v25, v52, v54, -v47
	v_mul_f32_e32 v4, v8, v31
	v_mul_f32_e32 v5, v2, v31
	;; [unrolled: 1-line block ×7, first 2 shown]
	v_fma_f32 v4, v2, v17, -v4
	v_fmac_f32_e32 v5, v8, v17
	v_fma_f32 v8, v6, v18, -v29
	v_fmac_f32_e32 v9, v19, v18
	;; [unrolled: 2-line block ×4, first 2 shown]
	v_add_nc_u32_e32 v17, 0xc8, v22
	s_and_saveexec_b32 s2, s1
	s_cbranch_execz .LBB0_35
; %bb.34:
	v_mad_u64_u32 v[24:25], null, s4, v22, 0
	v_mad_u64_u32 v[18:19], null, s6, v21, 0
	v_add_co_u32 v33, s1, s10, v12
	s_delay_alu instid0(VALU_DEP_1) | instskip(NEXT) | instid1(VALU_DEP_4)
	v_add_co_ci_u32_e64 v34, s1, s11, v13, s1
	v_mov_b32_e32 v20, v25
	v_mad_u64_u32 v[28:29], null, s4, v15, 0
	s_delay_alu instid0(VALU_DEP_2) | instskip(SKIP_3) | instid1(VALU_DEP_3)
	v_mad_u64_u32 v[25:26], null, s7, v21, v[19:20]
	v_mad_u64_u32 v[26:27], null, s4, v16, 0
	;; [unrolled: 1-line block ×4, first 2 shown]
	v_dual_mov_b32 v19, v25 :: v_dual_mov_b32 v20, v27
	v_mov_b32_e32 v27, v29
	s_delay_alu instid0(VALU_DEP_4) | instskip(NEXT) | instid1(VALU_DEP_3)
	v_mov_b32_e32 v25, v30
	v_lshlrev_b64 v[18:19], 3, v[18:19]
	s_delay_alu instid0(VALU_DEP_2) | instskip(NEXT) | instid1(VALU_DEP_2)
	v_lshlrev_b64 v[24:25], 3, v[24:25]
	v_add_co_u32 v36, s1, v33, v18
	s_delay_alu instid0(VALU_DEP_1) | instskip(SKIP_1) | instid1(VALU_DEP_3)
	v_add_co_ci_u32_e64 v37, s1, v34, v19, s1
	v_mad_u64_u32 v[18:19], null, s5, v16, v[20:21]
	v_add_co_u32 v19, s1, v36, v24
	s_delay_alu instid0(VALU_DEP_1)
	v_add_co_ci_u32_e64 v20, s1, v37, v25, s1
	v_mad_u64_u32 v[24:25], null, s4, v14, 0
	v_mov_b32_e32 v29, v32
	v_mad_u64_u32 v[32:33], null, s5, v15, v[27:28]
	v_mov_b32_e32 v27, v18
	global_store_b64 v[19:20], v[10:11], off
	v_mov_b32_e32 v18, v25
	v_mad_u64_u32 v[33:34], null, s5, v23, v[29:30]
	v_mad_u64_u32 v[34:35], null, s4, v17, 0
	s_delay_alu instid0(VALU_DEP_2) | instskip(SKIP_1) | instid1(VALU_DEP_1)
	v_dual_mov_b32 v29, v32 :: v_dual_mov_b32 v32, v33
	v_lshlrev_b64 v[19:20], 3, v[26:27]
	v_mad_u64_u32 v[25:26], null, s5, v14, v[18:19]
	s_delay_alu instid0(VALU_DEP_4) | instskip(SKIP_3) | instid1(VALU_DEP_3)
	v_mov_b32_e32 v18, v35
	v_add_co_u32 v19, s1, v36, v19
	v_lshlrev_b64 v[26:27], 3, v[28:29]
	v_add_co_ci_u32_e64 v20, s1, v37, v20, s1
	v_mad_u64_u32 v[28:29], null, s5, v17, v[18:19]
	v_lshlrev_b64 v[29:30], 3, v[31:32]
	s_delay_alu instid0(VALU_DEP_4) | instskip(NEXT) | instid1(VALU_DEP_1)
	v_add_co_u32 v26, s1, v36, v26
	v_add_co_ci_u32_e64 v27, s1, v37, v27, s1
	v_lshlrev_b64 v[24:25], 3, v[24:25]
	v_mov_b32_e32 v35, v28
	v_add_co_u32 v28, s1, v36, v29
	s_delay_alu instid0(VALU_DEP_1) | instskip(NEXT) | instid1(VALU_DEP_3)
	v_add_co_ci_u32_e64 v29, s1, v37, v30, s1
	v_lshlrev_b64 v[30:31], 3, v[34:35]
	v_add_co_u32 v24, s1, v36, v24
	s_delay_alu instid0(VALU_DEP_1) | instskip(NEXT) | instid1(VALU_DEP_3)
	v_add_co_ci_u32_e64 v25, s1, v37, v25, s1
	v_add_co_u32 v30, s1, v36, v30
	s_delay_alu instid0(VALU_DEP_1)
	v_add_co_ci_u32_e64 v31, s1, v37, v31, s1
	s_clause 0x4
	global_store_b64 v[19:20], v[4:5], off
	global_store_b64 v[26:27], v[8:9], off
	;; [unrolled: 1-line block ×5, first 2 shown]
.LBB0_35:
	s_or_b32 exec_lo, exec_lo, s2
	s_xor_b32 s1, s17, -1
	s_and_b32 s0, s0, vcc_lo
	s_delay_alu instid0(SALU_CYCLE_1) | instskip(NEXT) | instid1(SALU_CYCLE_1)
	s_and_b32 s0, s1, s0
	s_and_saveexec_b32 s1, s0
	s_cbranch_execz .LBB0_37
; %bb.36:
	v_mad_u64_u32 v[24:25], null, s4, v22, 0
	v_mad_u64_u32 v[18:19], null, s6, v21, 0
	;; [unrolled: 1-line block ×3, first 2 shown]
	s_delay_alu instid0(VALU_DEP_3) | instskip(NEXT) | instid1(VALU_DEP_1)
	v_mov_b32_e32 v20, v25
	v_mad_u64_u32 v[25:26], null, s7, v21, v[19:20]
	v_mad_u64_u32 v[30:31], null, s5, v22, v[20:21]
	;; [unrolled: 1-line block ×3, first 2 shown]
	v_add_co_u32 v22, vcc_lo, s10, v12
	s_delay_alu instid0(VALU_DEP_4) | instskip(SKIP_3) | instid1(VALU_DEP_4)
	v_mov_b32_e32 v19, v25
	v_add_co_ci_u32_e32 v31, vcc_lo, s11, v13, vcc_lo
	v_mov_b32_e32 v25, v30
	v_mad_u64_u32 v[20:21], null, s4, v23, 0
	v_lshlrev_b64 v[12:13], 3, v[18:19]
	v_mov_b32_e32 v18, v27
	s_delay_alu instid0(VALU_DEP_4) | instskip(NEXT) | instid1(VALU_DEP_3)
	v_lshlrev_b64 v[24:25], 3, v[24:25]
	v_add_co_u32 v34, vcc_lo, v22, v12
	s_delay_alu instid0(VALU_DEP_4) | instskip(SKIP_1) | instid1(VALU_DEP_3)
	v_add_co_ci_u32_e32 v35, vcc_lo, v31, v13, vcc_lo
	v_mad_u64_u32 v[30:31], null, s4, v14, 0
	v_add_co_u32 v24, vcc_lo, v34, v24
	v_mov_b32_e32 v19, v29
	s_delay_alu instid0(VALU_DEP_4)
	v_add_co_ci_u32_e32 v25, vcc_lo, v35, v25, vcc_lo
	global_store_b64 v[24:25], v[10:11], off
	v_mov_b32_e32 v10, v31
	v_mad_u64_u32 v[12:13], null, s5, v16, v[18:19]
	v_mad_u64_u32 v[32:33], null, s5, v15, v[19:20]
	;; [unrolled: 1-line block ×3, first 2 shown]
	s_delay_alu instid0(VALU_DEP_3) | instskip(SKIP_1) | instid1(VALU_DEP_4)
	v_mov_b32_e32 v27, v12
	v_mad_u64_u32 v[12:13], null, s4, v17, 0
	v_mov_b32_e32 v29, v32
	s_delay_alu instid0(VALU_DEP_4) | instskip(SKIP_1) | instid1(VALU_DEP_4)
	v_mov_b32_e32 v21, v15
	v_mad_u64_u32 v[15:16], null, s5, v14, v[10:11]
	v_mov_b32_e32 v10, v13
	v_lshlrev_b64 v[18:19], 3, v[26:27]
	v_lshlrev_b64 v[13:14], 3, v[28:29]
	s_delay_alu instid0(VALU_DEP_4) | instskip(NEXT) | instid1(VALU_DEP_4)
	v_mov_b32_e32 v31, v15
	v_mad_u64_u32 v[22:23], null, s5, v17, v[10:11]
	s_delay_alu instid0(VALU_DEP_4)
	v_add_co_u32 v18, vcc_lo, v34, v18
	v_add_co_ci_u32_e32 v19, vcc_lo, v35, v19, vcc_lo
	v_lshlrev_b64 v[10:11], 3, v[20:21]
	v_add_co_u32 v15, vcc_lo, v34, v13
	v_mov_b32_e32 v13, v22
	v_lshlrev_b64 v[20:21], 3, v[30:31]
	v_add_co_ci_u32_e32 v16, vcc_lo, v35, v14, vcc_lo
	v_add_co_u32 v10, vcc_lo, v34, v10
	s_delay_alu instid0(VALU_DEP_4) | instskip(SKIP_3) | instid1(VALU_DEP_4)
	v_lshlrev_b64 v[12:13], 3, v[12:13]
	v_add_co_ci_u32_e32 v11, vcc_lo, v35, v11, vcc_lo
	v_add_co_u32 v20, vcc_lo, v34, v20
	v_add_co_ci_u32_e32 v21, vcc_lo, v35, v21, vcc_lo
	v_add_co_u32 v12, vcc_lo, v34, v12
	v_add_co_ci_u32_e32 v13, vcc_lo, v35, v13, vcc_lo
	s_clause 0x4
	global_store_b64 v[18:19], v[4:5], off
	global_store_b64 v[15:16], v[8:9], off
	;; [unrolled: 1-line block ×5, first 2 shown]
.LBB0_37:
	s_nop 0
	s_sendmsg sendmsg(MSG_DEALLOC_VGPRS)
	s_endpgm
	.section	.rodata,"a",@progbits
	.p2align	6, 0x0
	.amdhsa_kernel fft_rtc_fwd_len240_factors_8_5_6_wgs_384_tpt_48_sp_op_CI_CI_sbcc_twdbase8_2step_dirReg_intrinsicRead
		.amdhsa_group_segment_fixed_size 0
		.amdhsa_private_segment_fixed_size 0
		.amdhsa_kernarg_size 112
		.amdhsa_user_sgpr_count 15
		.amdhsa_user_sgpr_dispatch_ptr 0
		.amdhsa_user_sgpr_queue_ptr 0
		.amdhsa_user_sgpr_kernarg_segment_ptr 1
		.amdhsa_user_sgpr_dispatch_id 0
		.amdhsa_user_sgpr_private_segment_size 0
		.amdhsa_wavefront_size32 1
		.amdhsa_uses_dynamic_stack 0
		.amdhsa_enable_private_segment 0
		.amdhsa_system_sgpr_workgroup_id_x 1
		.amdhsa_system_sgpr_workgroup_id_y 0
		.amdhsa_system_sgpr_workgroup_id_z 0
		.amdhsa_system_sgpr_workgroup_info 0
		.amdhsa_system_vgpr_workitem_id 0
		.amdhsa_next_free_vgpr 59
		.amdhsa_next_free_sgpr 54
		.amdhsa_reserve_vcc 1
		.amdhsa_float_round_mode_32 0
		.amdhsa_float_round_mode_16_64 0
		.amdhsa_float_denorm_mode_32 3
		.amdhsa_float_denorm_mode_16_64 3
		.amdhsa_dx10_clamp 1
		.amdhsa_ieee_mode 1
		.amdhsa_fp16_overflow 0
		.amdhsa_workgroup_processor_mode 1
		.amdhsa_memory_ordered 1
		.amdhsa_forward_progress 0
		.amdhsa_shared_vgpr_count 0
		.amdhsa_exception_fp_ieee_invalid_op 0
		.amdhsa_exception_fp_denorm_src 0
		.amdhsa_exception_fp_ieee_div_zero 0
		.amdhsa_exception_fp_ieee_overflow 0
		.amdhsa_exception_fp_ieee_underflow 0
		.amdhsa_exception_fp_ieee_inexact 0
		.amdhsa_exception_int_div_zero 0
	.end_amdhsa_kernel
	.text
.Lfunc_end0:
	.size	fft_rtc_fwd_len240_factors_8_5_6_wgs_384_tpt_48_sp_op_CI_CI_sbcc_twdbase8_2step_dirReg_intrinsicRead, .Lfunc_end0-fft_rtc_fwd_len240_factors_8_5_6_wgs_384_tpt_48_sp_op_CI_CI_sbcc_twdbase8_2step_dirReg_intrinsicRead
                                        ; -- End function
	.section	.AMDGPU.csdata,"",@progbits
; Kernel info:
; codeLenInByte = 5500
; NumSgprs: 56
; NumVgprs: 59
; ScratchSize: 0
; MemoryBound: 0
; FloatMode: 240
; IeeeMode: 1
; LDSByteSize: 0 bytes/workgroup (compile time only)
; SGPRBlocks: 6
; VGPRBlocks: 7
; NumSGPRsForWavesPerEU: 56
; NumVGPRsForWavesPerEU: 59
; Occupancy: 15
; WaveLimiterHint : 1
; COMPUTE_PGM_RSRC2:SCRATCH_EN: 0
; COMPUTE_PGM_RSRC2:USER_SGPR: 15
; COMPUTE_PGM_RSRC2:TRAP_HANDLER: 0
; COMPUTE_PGM_RSRC2:TGID_X_EN: 1
; COMPUTE_PGM_RSRC2:TGID_Y_EN: 0
; COMPUTE_PGM_RSRC2:TGID_Z_EN: 0
; COMPUTE_PGM_RSRC2:TIDIG_COMP_CNT: 0
	.text
	.p2alignl 7, 3214868480
	.fill 96, 4, 3214868480
	.type	__hip_cuid_5220f6a780702c13,@object ; @__hip_cuid_5220f6a780702c13
	.section	.bss,"aw",@nobits
	.globl	__hip_cuid_5220f6a780702c13
__hip_cuid_5220f6a780702c13:
	.byte	0                               ; 0x0
	.size	__hip_cuid_5220f6a780702c13, 1

	.ident	"AMD clang version 19.0.0git (https://github.com/RadeonOpenCompute/llvm-project roc-6.4.0 25133 c7fe45cf4b819c5991fe208aaa96edf142730f1d)"
	.section	".note.GNU-stack","",@progbits
	.addrsig
	.addrsig_sym __hip_cuid_5220f6a780702c13
	.amdgpu_metadata
---
amdhsa.kernels:
  - .args:
      - .actual_access:  read_only
        .address_space:  global
        .offset:         0
        .size:           8
        .value_kind:     global_buffer
      - .address_space:  global
        .offset:         8
        .size:           8
        .value_kind:     global_buffer
      - .offset:         16
        .size:           8
        .value_kind:     by_value
      - .actual_access:  read_only
        .address_space:  global
        .offset:         24
        .size:           8
        .value_kind:     global_buffer
      - .actual_access:  read_only
        .address_space:  global
        .offset:         32
        .size:           8
        .value_kind:     global_buffer
      - .actual_access:  read_only
        .address_space:  global
        .offset:         40
        .size:           8
        .value_kind:     global_buffer
      - .offset:         48
        .size:           8
        .value_kind:     by_value
      - .actual_access:  read_only
        .address_space:  global
        .offset:         56
        .size:           8
        .value_kind:     global_buffer
      - .actual_access:  read_only
        .address_space:  global
        .offset:         64
        .size:           8
        .value_kind:     global_buffer
      - .offset:         72
        .size:           4
        .value_kind:     by_value
      - .actual_access:  read_only
        .address_space:  global
        .offset:         80
        .size:           8
        .value_kind:     global_buffer
      - .actual_access:  read_only
        .address_space:  global
        .offset:         88
        .size:           8
        .value_kind:     global_buffer
      - .actual_access:  read_only
        .address_space:  global
        .offset:         96
        .size:           8
        .value_kind:     global_buffer
      - .actual_access:  write_only
        .address_space:  global
        .offset:         104
        .size:           8
        .value_kind:     global_buffer
    .group_segment_fixed_size: 0
    .kernarg_segment_align: 8
    .kernarg_segment_size: 112
    .language:       OpenCL C
    .language_version:
      - 2
      - 0
    .max_flat_workgroup_size: 384
    .name:           fft_rtc_fwd_len240_factors_8_5_6_wgs_384_tpt_48_sp_op_CI_CI_sbcc_twdbase8_2step_dirReg_intrinsicRead
    .private_segment_fixed_size: 0
    .sgpr_count:     56
    .sgpr_spill_count: 0
    .symbol:         fft_rtc_fwd_len240_factors_8_5_6_wgs_384_tpt_48_sp_op_CI_CI_sbcc_twdbase8_2step_dirReg_intrinsicRead.kd
    .uniform_work_group_size: 1
    .uses_dynamic_stack: false
    .vgpr_count:     59
    .vgpr_spill_count: 0
    .wavefront_size: 32
    .workgroup_processor_mode: 1
amdhsa.target:   amdgcn-amd-amdhsa--gfx1100
amdhsa.version:
  - 1
  - 2
...

	.end_amdgpu_metadata
